;; amdgpu-corpus repo=linkedin/Liger-Kernel kind=triton arch=gfx90a opt=O3 lang=triton
	.amdgcn_target "amdgcn-amd-amdhsa--gfx90a"
	.amdhsa_code_object_version 5
	.text
	.globl	_swiglu_backward_kernel         ; -- Begin function _swiglu_backward_kernel
	.p2align	8
	.type	_swiglu_backward_kernel,@function
_swiglu_backward_kernel:                ; @_swiglu_backward_kernel
.Lfunc_begin0:
	.cfi_sections .debug_frame
	.cfi_startproc
; %bb.1:
	.file	1 "/root/src/amdgpu-assembly/repos/linkedin__Liger-Kernel/triton_aot_kernels" "swiglu_aot.py"
	.loc	1 32 0 prologue_end             ; swiglu_aot.py:32:0
	s_load_dwordx2 s[6:7], s[4:5], 0x0
	s_load_dwordx8 s[8:15], s[4:5], 0x8
	s_waitcnt lgkmcnt(0)
	s_branch .LBB0_0
	.loc	1 0 0 is_stmt 0                 ; :0:0
.Ltmp0:
	.p2align	8
; %bb.2:
.LBB0_0:
.Ltmp1:
	.loc	1 38 27 is_stmt 1               ; swiglu_aot.py:38:27
	s_mul_hi_i32 s1, s12, s16
	s_mul_i32 s0, s12, s16
	.loc	1 38 14 is_stmt 0               ; swiglu_aot.py:38:14
	s_lshl_b64 s[2:3], s[0:1], 1
	s_add_u32 s0, s6, s2
	s_addc_u32 s1, s7, s3
	.loc	1 39 13 is_stmt 1               ; swiglu_aot.py:39:13
	s_add_u32 s8, s8, s2
	s_addc_u32 s5, s9, s3
	.loc	1 40 13                         ; swiglu_aot.py:40:13
	s_add_u32 s4, s10, s2
	s_addc_u32 s12, s11, s3
	s_mov_b32 s3, 0x27000
	s_mov_b32 s2, 0x7ffffffe
	.loc	1 45 21                         ; swiglu_aot.py:45:21
	v_lshlrev_b32_e32 v0, 1, v0
	.loc	1 47 20                         ; swiglu_aot.py:47:20
	s_and_b32 s9, s5, 0xffff
	s_mov_b32 s10, s2
	s_mov_b32 s11, s3
	.loc	1 45 21                         ; swiglu_aot.py:45:21
	v_or_b32_e32 v1, 0x1000, v0
	.loc	1 47 20                         ; swiglu_aot.py:47:20
	buffer_load_ushort v18, v0, s[8:11], 0 offen
	buffer_load_ushort v19, v0, s[8:11], 0 offen offset:512
	buffer_load_ushort v20, v0, s[8:11], 0 offen offset:1024
	buffer_load_ushort v21, v0, s[8:11], 0 offen offset:1536
	buffer_load_ushort v22, v0, s[8:11], 0 offen offset:2048
	buffer_load_ushort v23, v0, s[8:11], 0 offen offset:2560
	buffer_load_ushort v24, v0, s[8:11], 0 offen offset:3072
	buffer_load_ushort v25, v0, s[8:11], 0 offen offset:3584
	buffer_load_ushort v26, v1, s[8:11], 0 offen
	buffer_load_ushort v27, v1, s[8:11], 0 offen offset:512
	buffer_load_ushort v28, v1, s[8:11], 0 offen offset:1024
	;; [unrolled: 1-line block ×7, first 2 shown]
	.loc	1 45 21                         ; swiglu_aot.py:45:21
	s_and_b32 s1, s1, 0xffff
	.loc	1 48 20                         ; swiglu_aot.py:48:20
	s_mov_b32 s6, s2
	.loc	1 45 21                         ; swiglu_aot.py:45:21
	buffer_load_ushort v2, v0, s[0:3], 0 offen
	buffer_load_ushort v3, v0, s[0:3], 0 offen offset:512
	buffer_load_ushort v4, v0, s[0:3], 0 offen offset:1024
	buffer_load_ushort v5, v0, s[0:3], 0 offen offset:1536
	buffer_load_ushort v6, v0, s[0:3], 0 offen offset:2048
	buffer_load_ushort v7, v0, s[0:3], 0 offen offset:2560
	buffer_load_ushort v8, v0, s[0:3], 0 offen offset:3072
	buffer_load_ushort v9, v0, s[0:3], 0 offen offset:3584
	buffer_load_ushort v10, v1, s[0:3], 0 offen
	buffer_load_ushort v11, v1, s[0:3], 0 offen offset:512
	buffer_load_ushort v12, v1, s[0:3], 0 offen offset:1024
	;; [unrolled: 1-line block ×7, first 2 shown]
	s_mov_b32 s2, 0xc2fc0000
.Ltmp2:
	.file	2 "/root/.local/lib/python3.13/site-packages/triton/language" "standard.py"
	.loc	2 50 29                         ; standard.py:50:29 @[ swiglu_aot.py:51:23 ]
	v_mov_b32_e32 v51, 0x42800000
.Ltmp3:
	.loc	1 48 20                         ; swiglu_aot.py:48:20
	s_mov_b32 s7, s3
	s_and_b32 s5, s12, 0xffff
	.loc	1 47 64                         ; swiglu_aot.py:47:64
	s_waitcnt vmcnt(31)
	v_cvt_f32_f16_e32 v34, v18
.Ltmp4:
	.loc	2 50 30                         ; standard.py:50:30 @[ swiglu_aot.py:51:23 ]
	v_fma_mix_f32 v18, -s13, v18, 0 op_sel_hi:[0,1,0]
.Ltmp5:
	.loc	1 47 64                         ; swiglu_aot.py:47:64
	s_waitcnt vmcnt(30)
	v_cvt_f32_f16_e32 v35, v19
.Ltmp6:
	.loc	2 50 30                         ; standard.py:50:30 @[ swiglu_aot.py:51:23 ]
	v_fma_mix_f32 v19, -s13, v19, 0 op_sel_hi:[0,1,0]
	.loc	2 50 29 is_stmt 0               ; standard.py:50:29 @[ swiglu_aot.py:51:23 ]
	v_mul_f32_e32 v50, 0x3fb8aa3b, v18
	v_cmp_gt_f32_e32 vcc, s2, v50
	v_mul_f32_e32 v52, 0x3fb8aa3b, v19
	v_cndmask_b32_e32 v50, 0, v51, vcc
	v_cmp_gt_f32_e64 s[0:1], s2, v52
	v_fmac_f32_e32 v50, 0x3fb8aa3b, v18
	v_cndmask_b32_e64 v52, 0, v51, s[0:1]
	v_exp_f32_e32 v18, v50
	v_fmac_f32_e32 v52, 0x3fb8aa3b, v19
	v_exp_f32_e32 v19, v52
	v_not_b32_e32 v50, 63
	v_cndmask_b32_e32 v52, 0, v50, vcc
.Ltmp7:
	.loc	1 47 64 is_stmt 1               ; swiglu_aot.py:47:64
	s_waitcnt vmcnt(29)
	v_cvt_f32_f16_e32 v36, v20
.Ltmp8:
	.loc	2 50 30                         ; standard.py:50:30 @[ swiglu_aot.py:51:23 ]
	v_fma_mix_f32 v20, -s13, v20, 0 op_sel_hi:[0,1,0]
	.loc	2 50 29 is_stmt 0               ; standard.py:50:29 @[ swiglu_aot.py:51:23 ]
	v_ldexp_f32 v18, v18, v52
	v_cndmask_b32_e64 v52, 0, v50, s[0:1]
	v_ldexp_f32 v19, v19, v52
	v_mul_f32_e32 v52, 0x3fb8aa3b, v20
	v_cmp_gt_f32_e32 vcc, s2, v52
	v_cndmask_b32_e32 v52, 0, v51, vcc
.Ltmp9:
	.loc	1 47 64 is_stmt 1               ; swiglu_aot.py:47:64
	s_waitcnt vmcnt(28)
	v_cvt_f32_f16_e32 v37, v21
.Ltmp10:
	.loc	2 50 30                         ; standard.py:50:30 @[ swiglu_aot.py:51:23 ]
	v_fma_mix_f32 v21, -s13, v21, 0 op_sel_hi:[0,1,0]
	.loc	2 50 29 is_stmt 0               ; standard.py:50:29 @[ swiglu_aot.py:51:23 ]
	v_fmac_f32_e32 v52, 0x3fb8aa3b, v20
	v_exp_f32_e32 v20, v52
	v_mul_f32_e32 v52, 0x3fb8aa3b, v21
	v_cmp_gt_f32_e64 s[0:1], s2, v52
	v_cndmask_b32_e64 v52, 0, v51, s[0:1]
	v_fmac_f32_e32 v52, 0x3fb8aa3b, v21
	v_exp_f32_e32 v21, v52
	v_cndmask_b32_e32 v52, 0, v50, vcc
.Ltmp11:
	.loc	1 47 64 is_stmt 1               ; swiglu_aot.py:47:64
	s_waitcnt vmcnt(27)
	v_cvt_f32_f16_e32 v38, v22
.Ltmp12:
	.loc	2 50 30                         ; standard.py:50:30 @[ swiglu_aot.py:51:23 ]
	v_fma_mix_f32 v22, -s13, v22, 0 op_sel_hi:[0,1,0]
	.loc	2 50 29 is_stmt 0               ; standard.py:50:29 @[ swiglu_aot.py:51:23 ]
	v_ldexp_f32 v20, v20, v52
	v_cndmask_b32_e64 v52, 0, v50, s[0:1]
	v_ldexp_f32 v21, v21, v52
	v_mul_f32_e32 v52, 0x3fb8aa3b, v22
	v_cmp_gt_f32_e32 vcc, s2, v52
	v_cndmask_b32_e32 v52, 0, v51, vcc
.Ltmp13:
	.loc	1 47 64 is_stmt 1               ; swiglu_aot.py:47:64
	s_waitcnt vmcnt(26)
	v_cvt_f32_f16_e32 v39, v23
.Ltmp14:
	.loc	2 50 30                         ; standard.py:50:30 @[ swiglu_aot.py:51:23 ]
	v_fma_mix_f32 v23, -s13, v23, 0 op_sel_hi:[0,1,0]
	.loc	2 50 29 is_stmt 0               ; standard.py:50:29 @[ swiglu_aot.py:51:23 ]
	v_fmac_f32_e32 v52, 0x3fb8aa3b, v22
	v_exp_f32_e32 v22, v52
	v_mul_f32_e32 v52, 0x3fb8aa3b, v23
	v_cmp_gt_f32_e64 s[0:1], s2, v52
	v_cndmask_b32_e64 v52, 0, v51, s[0:1]
	v_fmac_f32_e32 v52, 0x3fb8aa3b, v23
	v_exp_f32_e32 v23, v52
	v_cndmask_b32_e32 v52, 0, v50, vcc
.Ltmp15:
	.loc	1 47 64 is_stmt 1               ; swiglu_aot.py:47:64
	s_waitcnt vmcnt(25)
	v_cvt_f32_f16_e32 v40, v24
.Ltmp16:
	.loc	2 50 30                         ; standard.py:50:30 @[ swiglu_aot.py:51:23 ]
	v_fma_mix_f32 v24, -s13, v24, 0 op_sel_hi:[0,1,0]
	.loc	2 50 29 is_stmt 0               ; standard.py:50:29 @[ swiglu_aot.py:51:23 ]
	v_ldexp_f32 v22, v22, v52
	v_cndmask_b32_e64 v52, 0, v50, s[0:1]
	v_ldexp_f32 v23, v23, v52
	v_mul_f32_e32 v52, 0x3fb8aa3b, v24
	v_cmp_gt_f32_e32 vcc, s2, v52
	v_cndmask_b32_e32 v52, 0, v51, vcc
.Ltmp17:
	.loc	1 47 64 is_stmt 1               ; swiglu_aot.py:47:64
	s_waitcnt vmcnt(24)
	v_cvt_f32_f16_e32 v41, v25
.Ltmp18:
	.loc	2 50 30                         ; standard.py:50:30 @[ swiglu_aot.py:51:23 ]
	v_fma_mix_f32 v25, -s13, v25, 0 op_sel_hi:[0,1,0]
	.loc	2 50 29 is_stmt 0               ; standard.py:50:29 @[ swiglu_aot.py:51:23 ]
	v_fmac_f32_e32 v52, 0x3fb8aa3b, v24
	v_exp_f32_e32 v24, v52
	v_mul_f32_e32 v52, 0x3fb8aa3b, v25
	v_cmp_gt_f32_e64 s[0:1], s2, v52
	v_cndmask_b32_e64 v52, 0, v51, s[0:1]
	v_fmac_f32_e32 v52, 0x3fb8aa3b, v25
	v_exp_f32_e32 v25, v52
	v_cndmask_b32_e32 v52, 0, v50, vcc
.Ltmp19:
	.loc	1 47 64 is_stmt 1               ; swiglu_aot.py:47:64
	s_waitcnt vmcnt(23)
	v_cvt_f32_f16_e32 v42, v26
.Ltmp20:
	.loc	2 50 30                         ; standard.py:50:30 @[ swiglu_aot.py:51:23 ]
	v_fma_mix_f32 v26, -s13, v26, 0 op_sel_hi:[0,1,0]
	.loc	2 50 29 is_stmt 0               ; standard.py:50:29 @[ swiglu_aot.py:51:23 ]
	v_ldexp_f32 v24, v24, v52
	v_cndmask_b32_e64 v52, 0, v50, s[0:1]
	v_ldexp_f32 v25, v25, v52
	v_mul_f32_e32 v52, 0x3fb8aa3b, v26
	v_cmp_gt_f32_e32 vcc, s2, v52
	v_cndmask_b32_e32 v52, 0, v51, vcc
.Ltmp21:
	.loc	1 47 64 is_stmt 1               ; swiglu_aot.py:47:64
	s_waitcnt vmcnt(22)
	v_cvt_f32_f16_e32 v43, v27
.Ltmp22:
	.loc	2 50 30                         ; standard.py:50:30 @[ swiglu_aot.py:51:23 ]
	v_fma_mix_f32 v27, -s13, v27, 0 op_sel_hi:[0,1,0]
	.loc	2 50 29 is_stmt 0               ; standard.py:50:29 @[ swiglu_aot.py:51:23 ]
	v_fmac_f32_e32 v52, 0x3fb8aa3b, v26
	v_exp_f32_e32 v26, v52
	v_mul_f32_e32 v52, 0x3fb8aa3b, v27
	v_cmp_gt_f32_e64 s[0:1], s2, v52
	v_cndmask_b32_e64 v52, 0, v51, s[0:1]
	v_fmac_f32_e32 v52, 0x3fb8aa3b, v27
	v_exp_f32_e32 v27, v52
	v_cndmask_b32_e32 v52, 0, v50, vcc
.Ltmp23:
	.loc	1 47 64 is_stmt 1               ; swiglu_aot.py:47:64
	s_waitcnt vmcnt(21)
	v_cvt_f32_f16_e32 v44, v28
.Ltmp24:
	.loc	2 50 30                         ; standard.py:50:30 @[ swiglu_aot.py:51:23 ]
	v_fma_mix_f32 v28, -s13, v28, 0 op_sel_hi:[0,1,0]
	.loc	2 50 29 is_stmt 0               ; standard.py:50:29 @[ swiglu_aot.py:51:23 ]
	v_ldexp_f32 v26, v26, v52
	v_cndmask_b32_e64 v52, 0, v50, s[0:1]
	v_ldexp_f32 v27, v27, v52
	v_mul_f32_e32 v52, 0x3fb8aa3b, v28
	v_cmp_gt_f32_e32 vcc, s2, v52
	v_cndmask_b32_e32 v52, 0, v51, vcc
.Ltmp25:
	.loc	1 47 64 is_stmt 1               ; swiglu_aot.py:47:64
	s_waitcnt vmcnt(20)
	v_cvt_f32_f16_e32 v45, v29
.Ltmp26:
	.loc	2 50 30                         ; standard.py:50:30 @[ swiglu_aot.py:51:23 ]
	v_fma_mix_f32 v29, -s13, v29, 0 op_sel_hi:[0,1,0]
	.loc	2 50 29 is_stmt 0               ; standard.py:50:29 @[ swiglu_aot.py:51:23 ]
	v_fmac_f32_e32 v52, 0x3fb8aa3b, v28
	v_exp_f32_e32 v28, v52
	v_mul_f32_e32 v52, 0x3fb8aa3b, v29
	v_cmp_gt_f32_e64 s[0:1], s2, v52
	v_cndmask_b32_e64 v52, 0, v51, s[0:1]
	v_fmac_f32_e32 v52, 0x3fb8aa3b, v29
	v_exp_f32_e32 v29, v52
	v_cndmask_b32_e32 v52, 0, v50, vcc
.Ltmp27:
	.loc	1 47 64 is_stmt 1               ; swiglu_aot.py:47:64
	s_waitcnt vmcnt(19)
	v_cvt_f32_f16_e32 v46, v30
.Ltmp28:
	.loc	2 50 30                         ; standard.py:50:30 @[ swiglu_aot.py:51:23 ]
	v_fma_mix_f32 v30, -s13, v30, 0 op_sel_hi:[0,1,0]
	.loc	2 50 29 is_stmt 0               ; standard.py:50:29 @[ swiglu_aot.py:51:23 ]
	v_ldexp_f32 v28, v28, v52
	v_cndmask_b32_e64 v52, 0, v50, s[0:1]
	v_ldexp_f32 v29, v29, v52
	v_mul_f32_e32 v52, 0x3fb8aa3b, v30
	v_cmp_gt_f32_e32 vcc, s2, v52
	v_cndmask_b32_e32 v52, 0, v51, vcc
.Ltmp29:
	.loc	1 47 64 is_stmt 1               ; swiglu_aot.py:47:64
	s_waitcnt vmcnt(18)
	v_cvt_f32_f16_e32 v47, v31
.Ltmp30:
	.loc	2 50 30                         ; standard.py:50:30 @[ swiglu_aot.py:51:23 ]
	v_fma_mix_f32 v31, -s13, v31, 0 op_sel_hi:[0,1,0]
	.loc	2 50 29 is_stmt 0               ; standard.py:50:29 @[ swiglu_aot.py:51:23 ]
	v_fmac_f32_e32 v52, 0x3fb8aa3b, v30
	v_exp_f32_e32 v30, v52
	v_mul_f32_e32 v52, 0x3fb8aa3b, v31
	v_cmp_gt_f32_e64 s[0:1], s2, v52
	v_cndmask_b32_e64 v52, 0, v51, s[0:1]
	v_fmac_f32_e32 v52, 0x3fb8aa3b, v31
	v_exp_f32_e32 v31, v52
	v_cndmask_b32_e32 v52, 0, v50, vcc
.Ltmp31:
	.loc	1 47 64 is_stmt 1               ; swiglu_aot.py:47:64
	s_waitcnt vmcnt(17)
	v_cvt_f32_f16_e32 v48, v32
.Ltmp32:
	.loc	2 50 30                         ; standard.py:50:30 @[ swiglu_aot.py:51:23 ]
	v_fma_mix_f32 v32, -s13, v32, 0 op_sel_hi:[0,1,0]
	.loc	2 50 29 is_stmt 0               ; standard.py:50:29 @[ swiglu_aot.py:51:23 ]
	v_ldexp_f32 v30, v30, v52
	v_cndmask_b32_e64 v52, 0, v50, s[0:1]
	v_ldexp_f32 v31, v31, v52
	v_mul_f32_e32 v52, 0x3fb8aa3b, v32
	v_cmp_gt_f32_e32 vcc, s2, v52
	v_cndmask_b32_e32 v52, 0, v51, vcc
.Ltmp33:
	.loc	1 47 64 is_stmt 1               ; swiglu_aot.py:47:64
	s_waitcnt vmcnt(16)
	v_cvt_f32_f16_e32 v49, v33
.Ltmp34:
	.loc	2 50 30                         ; standard.py:50:30 @[ swiglu_aot.py:51:23 ]
	v_fma_mix_f32 v33, -s13, v33, 0 op_sel_hi:[0,1,0]
	.loc	2 50 29 is_stmt 0               ; standard.py:50:29 @[ swiglu_aot.py:51:23 ]
	v_fmac_f32_e32 v52, 0x3fb8aa3b, v32
	v_exp_f32_e32 v32, v52
	v_mul_f32_e32 v52, 0x3fb8aa3b, v33
	v_cmp_gt_f32_e64 s[0:1], s2, v52
	v_cndmask_b32_e64 v51, 0, v51, s[0:1]
	v_fmac_f32_e32 v51, 0x3fb8aa3b, v33
	v_exp_f32_e32 v33, v51
	v_cndmask_b32_e32 v51, 0, v50, vcc
	v_cndmask_b32_e64 v50, 0, v50, s[0:1]
	.loc	2 50 20                         ; standard.py:50:20 @[ swiglu_aot.py:51:23 ]
	v_add_f32_e32 v18, 1.0, v18
	.loc	2 50 29                         ; standard.py:50:29 @[ swiglu_aot.py:51:23 ]
	v_ldexp_f32 v33, v33, v50
	.loc	2 50 16                         ; standard.py:50:16 @[ swiglu_aot.py:51:23 ]
	v_div_scale_f32 v50, s[0:1], v18, v18, 1.0
	.loc	2 50 29                         ; standard.py:50:29 @[ swiglu_aot.py:51:23 ]
	v_ldexp_f32 v32, v32, v51
	.loc	2 50 16                         ; standard.py:50:16 @[ swiglu_aot.py:51:23 ]
	v_rcp_f32_e32 v51, v50
	.loc	2 50 20                         ; standard.py:50:20 @[ swiglu_aot.py:51:23 ]
	v_add_f32_e32 v19, 1.0, v19
	v_add_f32_e32 v20, 1.0, v20
	;; [unrolled: 1-line block ×3, first 2 shown]
	.loc	2 50 16                         ; standard.py:50:16 @[ swiglu_aot.py:51:23 ]
	v_fma_f32 v52, -v50, v51, 1.0
	v_fmac_f32_e32 v51, v52, v51
	v_div_scale_f32 v52, vcc, 1.0, v18, 1.0
	v_mul_f32_e32 v53, v52, v51
	v_fma_f32 v54, -v50, v53, v52
	v_fmac_f32_e32 v53, v54, v51
	v_fma_f32 v50, -v50, v53, v52
	v_div_scale_f32 v52, s[0:1], v19, v19, 1.0
	v_rcp_f32_e32 v54, v52
	v_div_fmas_f32 v50, v50, v51, v53
	v_div_fixup_f32 v18, v50, v18, 1.0
	.loc	2 50 20                         ; standard.py:50:20 @[ swiglu_aot.py:51:23 ]
	v_add_f32_e32 v22, 1.0, v22
	.loc	2 50 16                         ; standard.py:50:16 @[ swiglu_aot.py:51:23 ]
	v_fma_f32 v50, -v52, v54, 1.0
	v_fmac_f32_e32 v54, v50, v54
	v_div_scale_f32 v50, vcc, 1.0, v19, 1.0
	v_mul_f32_e32 v51, v50, v54
	v_fma_f32 v53, -v52, v51, v50
	v_fmac_f32_e32 v51, v53, v54
	v_fma_f32 v50, -v52, v51, v50
	v_div_scale_f32 v52, s[0:1], v20, v20, 1.0
	v_rcp_f32_e32 v53, v52
	v_div_fmas_f32 v50, v50, v54, v51
	v_div_fixup_f32 v19, v50, v19, 1.0
	.loc	2 50 20                         ; standard.py:50:20 @[ swiglu_aot.py:51:23 ]
	v_add_f32_e32 v23, 1.0, v23
	;; [unrolled: 14-line block ×12, first 2 shown]
	.loc	2 50 16                         ; standard.py:50:16 @[ swiglu_aot.py:51:23 ]
	v_fma_f32 v50, -v52, v53, 1.0
	v_fmac_f32_e32 v53, v50, v53
	v_div_scale_f32 v50, vcc, 1.0, v30, 1.0
	v_mul_f32_e32 v51, v50, v53
	v_fma_f32 v54, -v52, v51, v50
	v_fmac_f32_e32 v51, v54, v53
	v_fma_f32 v50, -v52, v51, v50
	v_div_scale_f32 v52, s[0:1], v31, v31, 1.0
	v_rcp_f32_e32 v54, v52
	v_div_fmas_f32 v50, v50, v53, v51
	v_div_fixup_f32 v30, v50, v30, 1.0
.Ltmp35:
	.loc	1 47 78 is_stmt 1               ; swiglu_aot.py:47:78
	v_mul_f32_e32 v34, s13, v34
.Ltmp36:
	.loc	2 50 16                         ; standard.py:50:16 @[ swiglu_aot.py:51:23 ]
	v_fma_f32 v50, -v52, v54, 1.0
	v_fmac_f32_e32 v54, v50, v54
	v_div_scale_f32 v50, vcc, 1.0, v31, 1.0
	v_mul_f32_e32 v51, v50, v54
	v_fma_f32 v53, -v52, v51, v50
	v_fmac_f32_e32 v51, v53, v54
	v_fma_f32 v50, -v52, v51, v50
	v_div_scale_f32 v52, s[0:1], v32, v32, 1.0
	v_rcp_f32_e32 v53, v52
	v_div_fmas_f32 v50, v50, v54, v51
	v_div_fixup_f32 v31, v50, v31, 1.0
.Ltmp37:
	.loc	1 47 78                         ; swiglu_aot.py:47:78
	v_mul_f32_e32 v35, s13, v35
.Ltmp38:
	.loc	2 50 16                         ; standard.py:50:16 @[ swiglu_aot.py:51:23 ]
	v_fma_f32 v50, -v52, v53, 1.0
	v_fmac_f32_e32 v53, v50, v53
	v_div_scale_f32 v50, vcc, 1.0, v32, 1.0
	v_mul_f32_e32 v51, v50, v53
	v_fma_f32 v54, -v52, v51, v50
	v_fmac_f32_e32 v51, v54, v53
	v_fma_f32 v50, -v52, v51, v50
	v_div_scale_f32 v52, s[0:1], v33, v33, 1.0
	v_rcp_f32_e32 v54, v52
	v_div_fmas_f32 v50, v50, v53, v51
	v_div_fixup_f32 v32, v50, v32, 1.0
.Ltmp39:
	.loc	1 52 21                         ; swiglu_aot.py:52:21
	v_mul_f32_e32 v34, v34, v18
.Ltmp40:
	.loc	2 50 16                         ; standard.py:50:16 @[ swiglu_aot.py:51:23 ]
	v_fma_f32 v50, -v52, v54, 1.0
	v_fmac_f32_e32 v54, v50, v54
	v_div_scale_f32 v50, vcc, 1.0, v33, 1.0
	v_mul_f32_e32 v51, v50, v54
	v_fma_f32 v53, -v52, v51, v50
	v_fmac_f32_e32 v51, v53, v54
.Ltmp41:
	.loc	1 48 20                         ; swiglu_aot.py:48:20
	buffer_load_ushort v53, v0, s[4:7], 0 offen
	buffer_load_ushort v55, v0, s[4:7], 0 offen offset:512
	buffer_load_ushort v56, v0, s[4:7], 0 offen offset:1024
	;; [unrolled: 1-line block ×5, first 2 shown]
.Ltmp42:
	.loc	2 50 16                         ; standard.py:50:16 @[ swiglu_aot.py:51:23 ]
	v_fma_f32 v50, -v52, v51, v50
	v_div_fmas_f32 v50, v50, v54, v51
.Ltmp43:
	.loc	1 55 37                         ; swiglu_aot.py:55:37
	v_sub_f32_e32 v54, 1.0, v18
	.loc	1 47 78                         ; swiglu_aot.py:47:78
	v_mul_f32_e32 v36, s13, v36
	.loc	1 52 21                         ; swiglu_aot.py:52:21
	v_mul_f32_e32 v35, v35, v19
	.loc	1 55 46                         ; swiglu_aot.py:55:46
	v_fmac_f32_e32 v18, v34, v54
	.loc	1 55 37 is_stmt 0               ; swiglu_aot.py:55:37
	v_sub_f32_e32 v54, 1.0, v19
	.loc	1 47 78 is_stmt 1               ; swiglu_aot.py:47:78
	v_mul_f32_e32 v37, s13, v37
	.loc	1 52 21                         ; swiglu_aot.py:52:21
	v_mul_f32_e32 v36, v36, v20
	.loc	1 55 46                         ; swiglu_aot.py:55:46
	v_fmac_f32_e32 v19, v35, v54
	.loc	1 55 37 is_stmt 0               ; swiglu_aot.py:55:37
	v_sub_f32_e32 v54, 1.0, v20
	.loc	1 47 78 is_stmt 1               ; swiglu_aot.py:47:78
	;; [unrolled: 8-line block ×13, first 2 shown]
	v_mul_f32_e32 v49, s13, v49
.Ltmp44:
	.loc	2 50 16                         ; standard.py:50:16 @[ swiglu_aot.py:51:23 ]
	v_div_fixup_f32 v33, v50, v33, 1.0
.Ltmp45:
	.loc	1 52 21                         ; swiglu_aot.py:52:21
	v_mul_f32_e32 v48, v48, v32
	.loc	1 55 46                         ; swiglu_aot.py:55:46
	v_fmac_f32_e32 v31, v47, v54
	.loc	1 55 37 is_stmt 0               ; swiglu_aot.py:55:37
	v_sub_f32_e32 v54, 1.0, v32
	.loc	1 52 21 is_stmt 1               ; swiglu_aot.py:52:21
	v_mul_f32_e32 v49, v49, v33
	.loc	1 55 46                         ; swiglu_aot.py:55:46
	v_fmac_f32_e32 v32, v48, v54
	.loc	1 55 37 is_stmt 0               ; swiglu_aot.py:55:37
	v_sub_f32_e32 v54, 1.0, v33
	.loc	1 53 22 is_stmt 1               ; swiglu_aot.py:53:22
	s_waitcnt vmcnt(19)
	v_cvt_f32_f16_e32 v52, v4
	.loc	1 55 46                         ; swiglu_aot.py:55:46
	v_fmac_f32_e32 v33, v49, v54
	.loc	1 53 22                         ; swiglu_aot.py:53:22
	s_waitcnt vmcnt(18)
	v_cvt_f32_f16_e32 v54, v5
	v_cvt_f32_f16_e32 v50, v2
	;; [unrolled: 1-line block ×3, first 2 shown]
	.loc	1 55 23                         ; swiglu_aot.py:55:23
	v_mul_f32_e32 v20, v20, v52
	.loc	1 53 22                         ; swiglu_aot.py:53:22
	s_waitcnt vmcnt(15)
	v_cvt_f32_f16_e32 v52, v8
	.loc	1 55 23                         ; swiglu_aot.py:55:23
	v_mul_f32_e32 v21, v21, v54
	.loc	1 53 22                         ; swiglu_aot.py:53:22
	s_waitcnt vmcnt(14)
	v_cvt_f32_f16_e32 v54, v9
	.loc	1 55 23                         ; swiglu_aot.py:55:23
	v_mul_f32_e32 v18, v18, v50
	.loc	1 53 22                         ; swiglu_aot.py:53:22
	v_cvt_f32_f16_e32 v50, v6
	.loc	1 55 23                         ; swiglu_aot.py:55:23
	v_mul_f32_e32 v19, v19, v51
	.loc	1 53 22                         ; swiglu_aot.py:53:22
	v_cvt_f32_f16_e32 v51, v7
	.loc	1 55 23                         ; swiglu_aot.py:55:23
	v_mul_f32_e32 v24, v24, v52
	.loc	1 53 22                         ; swiglu_aot.py:53:22
	s_waitcnt vmcnt(11)
	v_cvt_f32_f16_e32 v52, v12
	.loc	1 55 23                         ; swiglu_aot.py:55:23
	v_mul_f32_e32 v25, v25, v54
	.loc	1 53 22                         ; swiglu_aot.py:53:22
	s_waitcnt vmcnt(10)
	v_cvt_f32_f16_e32 v54, v13
	.loc	1 55 23                         ; swiglu_aot.py:55:23
	v_mul_f32_e32 v22, v22, v50
	.loc	1 53 22                         ; swiglu_aot.py:53:22
	v_cvt_f32_f16_e32 v50, v10
	.loc	1 55 23                         ; swiglu_aot.py:55:23
	v_mul_f32_e32 v23, v23, v51
	.loc	1 53 22                         ; swiglu_aot.py:53:22
	v_cvt_f32_f16_e32 v51, v11
	;; [unrolled: 18-line block ×3, first 2 shown]
	.loc	1 55 23                         ; swiglu_aot.py:55:23
	v_mul_f32_e32 v32, v32, v52
	v_mul_f32_e32 v33, v33, v54
	.loc	1 55 55 is_stmt 0               ; swiglu_aot.py:55:55
	s_waitcnt vmcnt(5)
	v_cvt_f32_f16_e32 v52, v53
	s_waitcnt vmcnt(4)
	v_cvt_f32_f16_e32 v53, v55
	s_waitcnt vmcnt(3)
	v_cvt_f32_f16_e32 v54, v56
	s_waitcnt vmcnt(2)
	v_cvt_f32_f16_e32 v55, v57
	s_waitcnt vmcnt(1)
	v_cvt_f32_f16_e32 v56, v58
	s_waitcnt vmcnt(0)
	v_cvt_f32_f16_e32 v57, v59
	.loc	1 55 23                         ; swiglu_aot.py:55:23
	v_mul_f32_e32 v30, v30, v50
	v_mul_f32_e32 v31, v31, v51
	.loc	1 48 20 is_stmt 1               ; swiglu_aot.py:48:20
	buffer_load_ushort v50, v0, s[4:7], 0 offen offset:3072
	buffer_load_ushort v51, v0, s[4:7], 0 offen offset:3584
	.loc	1 55 55                         ; swiglu_aot.py:55:55
	v_mul_f32_e32 v18, v18, v52
	v_mul_f32_e32 v19, v19, v53
	;; [unrolled: 1-line block ×6, first 2 shown]
	.loc	1 48 20                         ; swiglu_aot.py:48:20
	buffer_load_ushort v52, v1, s[4:7], 0 offen
	buffer_load_ushort v53, v1, s[4:7], 0 offen offset:512
	buffer_load_ushort v54, v1, s[4:7], 0 offen offset:1024
	;; [unrolled: 1-line block ×7, first 2 shown]
	.loc	1 57 34                         ; swiglu_aot.py:57:34
	v_fma_mixlo_f16 v18, s13, v18, 0
	.loc	1 58 34                         ; swiglu_aot.py:58:34
	v_fma_mixlo_f16 v2, v34, v2, 0 op_sel_hi:[0,1,0]
	.loc	1 57 34                         ; swiglu_aot.py:57:34
	v_fma_mixlo_f16 v19, s13, v19, 0
	v_fma_mixlo_f16 v20, s13, v20, 0
	;; [unrolled: 1-line block ×5, first 2 shown]
	.loc	1 58 34                         ; swiglu_aot.py:58:34
	v_fma_mixlo_f16 v3, v35, v3, 0 op_sel_hi:[0,1,0]
	v_fma_mixlo_f16 v4, v36, v4, 0 op_sel_hi:[0,1,0]
	;; [unrolled: 1-line block ×15, first 2 shown]
	.loc	1 55 55                         ; swiglu_aot.py:55:55
	s_waitcnt vmcnt(9)
	v_cvt_f32_f16_e32 v50, v50
	s_waitcnt vmcnt(8)
	v_cvt_f32_f16_e32 v51, v51
	;; [unrolled: 2-line block ×10, first 2 shown]
	v_mul_f32_e32 v24, v24, v50
	v_mul_f32_e32 v25, v25, v51
	;; [unrolled: 1-line block ×10, first 2 shown]
	.loc	1 57 34                         ; swiglu_aot.py:57:34
	v_fma_mixlo_f16 v24, s13, v24, 0
	v_fma_mixlo_f16 v25, s13, v25, 0
	v_fma_mixlo_f16 v26, s13, v26, 0
	v_fma_mixlo_f16 v27, s13, v27, 0
	v_fma_mixlo_f16 v28, s13, v28, 0
	v_fma_mixlo_f16 v29, s13, v29, 0
	v_fma_mixlo_f16 v30, s13, v30, 0
	v_fma_mixlo_f16 v31, s13, v31, 0
	v_fma_mixlo_f16 v32, s13, v32, 0
	v_fma_mixlo_f16 v33, s13, v33, 0
	buffer_store_short v18, v0, s[8:11], 0 offen
	buffer_store_short v19, v0, s[8:11], 0 offen offset:512
	buffer_store_short v20, v0, s[8:11], 0 offen offset:1024
	;; [unrolled: 1-line block ×7, first 2 shown]
	buffer_store_short v26, v1, s[8:11], 0 offen
	buffer_store_short v27, v1, s[8:11], 0 offen offset:512
	buffer_store_short v28, v1, s[8:11], 0 offen offset:1024
	;; [unrolled: 1-line block ×7, first 2 shown]
	.loc	1 58 34                         ; swiglu_aot.py:58:34
	buffer_store_short v2, v0, s[4:7], 0 offen
	buffer_store_short v3, v0, s[4:7], 0 offen offset:512
	buffer_store_short v4, v0, s[4:7], 0 offen offset:1024
	;; [unrolled: 1-line block ×7, first 2 shown]
	buffer_store_short v10, v1, s[4:7], 0 offen
	buffer_store_short v11, v1, s[4:7], 0 offen offset:512
	buffer_store_short v12, v1, s[4:7], 0 offen offset:1024
	buffer_store_short v13, v1, s[4:7], 0 offen offset:1536
	buffer_store_short v14, v1, s[4:7], 0 offen offset:2048
	buffer_store_short v15, v1, s[4:7], 0 offen offset:2560
	buffer_store_short v16, v1, s[4:7], 0 offen offset:3072
	buffer_store_short v17, v1, s[4:7], 0 offen offset:3584
	.loc	1 58 4 is_stmt 0                ; swiglu_aot.py:58:4
	s_endpgm
.Ltmp46:
	.section	.rodata,"a",@progbits
	.p2align	6, 0x0
	.amdhsa_kernel _swiglu_backward_kernel
		.amdhsa_group_segment_fixed_size 0
		.amdhsa_private_segment_fixed_size 0
		.amdhsa_kernarg_size 48
		.amdhsa_user_sgpr_count 16
		.amdhsa_user_sgpr_private_segment_buffer 1
		.amdhsa_user_sgpr_dispatch_ptr 0
		.amdhsa_user_sgpr_queue_ptr 0
		.amdhsa_user_sgpr_kernarg_segment_ptr 1
		.amdhsa_user_sgpr_dispatch_id 0
		.amdhsa_user_sgpr_flat_scratch_init 0
		.amdhsa_user_sgpr_kernarg_preload_length 10
		.amdhsa_user_sgpr_kernarg_preload_offset 0
		.amdhsa_user_sgpr_private_segment_size 0
		.amdhsa_uses_dynamic_stack 0
		.amdhsa_system_sgpr_private_segment_wavefront_offset 0
		.amdhsa_system_sgpr_workgroup_id_x 1
		.amdhsa_system_sgpr_workgroup_id_y 0
		.amdhsa_system_sgpr_workgroup_id_z 0
		.amdhsa_system_sgpr_workgroup_info 0
		.amdhsa_system_vgpr_workitem_id 0
		.amdhsa_next_free_vgpr 60
		.amdhsa_next_free_sgpr 17
		.amdhsa_accum_offset 60
		.amdhsa_reserve_vcc 1
		.amdhsa_reserve_flat_scratch 0
		.amdhsa_reserve_xnack_mask 1
		.amdhsa_float_round_mode_32 0
		.amdhsa_float_round_mode_16_64 0
		.amdhsa_float_denorm_mode_32 3
		.amdhsa_float_denorm_mode_16_64 3
		.amdhsa_dx10_clamp 1
		.amdhsa_ieee_mode 1
		.amdhsa_fp16_overflow 0
		.amdhsa_tg_split 0
		.amdhsa_exception_fp_ieee_invalid_op 0
		.amdhsa_exception_fp_denorm_src 0
		.amdhsa_exception_fp_ieee_div_zero 0
		.amdhsa_exception_fp_ieee_overflow 0
		.amdhsa_exception_fp_ieee_underflow 0
		.amdhsa_exception_fp_ieee_inexact 0
		.amdhsa_exception_int_div_zero 0
	.end_amdhsa_kernel
	.text
.Lfunc_end0:
	.size	_swiglu_backward_kernel, .Lfunc_end0-_swiglu_backward_kernel
	.cfi_endproc
                                        ; -- End function
	.set _swiglu_backward_kernel.num_vgpr, 60
	.set _swiglu_backward_kernel.num_agpr, 0
	.set _swiglu_backward_kernel.numbered_sgpr, 17
	.set _swiglu_backward_kernel.num_named_barrier, 0
	.set _swiglu_backward_kernel.private_seg_size, 0
	.set _swiglu_backward_kernel.uses_vcc, 1
	.set _swiglu_backward_kernel.uses_flat_scratch, 0
	.set _swiglu_backward_kernel.has_dyn_sized_stack, 0
	.set _swiglu_backward_kernel.has_recursion, 0
	.set _swiglu_backward_kernel.has_indirect_call, 0
	.section	.AMDGPU.csdata,"",@progbits
; Kernel info:
; codeLenInByte = 4096
; TotalNumSgprs: 21
; NumVgprs: 60
; NumAgprs: 0
; TotalNumVgprs: 60
; ScratchSize: 0
; MemoryBound: 0
; FloatMode: 240
; IeeeMode: 1
; LDSByteSize: 0 bytes/workgroup (compile time only)
; SGPRBlocks: 2
; VGPRBlocks: 7
; NumSGPRsForWavesPerEU: 21
; NumVGPRsForWavesPerEU: 60
; AccumOffset: 60
; Occupancy: 8
; WaveLimiterHint : 0
; COMPUTE_PGM_RSRC2:SCRATCH_EN: 0
; COMPUTE_PGM_RSRC2:USER_SGPR: 16
; COMPUTE_PGM_RSRC2:TRAP_HANDLER: 0
; COMPUTE_PGM_RSRC2:TGID_X_EN: 1
; COMPUTE_PGM_RSRC2:TGID_Y_EN: 0
; COMPUTE_PGM_RSRC2:TGID_Z_EN: 0
; COMPUTE_PGM_RSRC2:TIDIG_COMP_CNT: 0
; COMPUTE_PGM_RSRC3_GFX90A:ACCUM_OFFSET: 14
; COMPUTE_PGM_RSRC3_GFX90A:TG_SPLIT: 0
	.text
	.p2alignl 6, 3212836864
	.fill 256, 4, 3212836864
	.section	.AMDGPU.gpr_maximums,"",@progbits
	.set amdgpu.max_num_vgpr, 0
	.set amdgpu.max_num_agpr, 0
	.set amdgpu.max_num_sgpr, 0
	.set amdgpu.max_num_named_barrier, 0
	.text
	.section	.debug_abbrev,"",@progbits
	.byte	1                               ; Abbreviation Code
	.byte	17                              ; DW_TAG_compile_unit
	.byte	1                               ; DW_CHILDREN_yes
	.byte	37                              ; DW_AT_producer
	.byte	14                              ; DW_FORM_strp
	.byte	19                              ; DW_AT_language
	.byte	5                               ; DW_FORM_data2
	.byte	3                               ; DW_AT_name
	.byte	14                              ; DW_FORM_strp
	.byte	16                              ; DW_AT_stmt_list
	.byte	23                              ; DW_FORM_sec_offset
	.byte	27                              ; DW_AT_comp_dir
	.byte	14                              ; DW_FORM_strp
	.byte	17                              ; DW_AT_low_pc
	.byte	1                               ; DW_FORM_addr
	.byte	18                              ; DW_AT_high_pc
	.byte	6                               ; DW_FORM_data4
	.byte	0                               ; EOM(1)
	.byte	0                               ; EOM(2)
	.byte	2                               ; Abbreviation Code
	.byte	46                              ; DW_TAG_subprogram
	.byte	0                               ; DW_CHILDREN_no
	.byte	3                               ; DW_AT_name
	.byte	14                              ; DW_FORM_strp
	.byte	32                              ; DW_AT_inline
	.byte	11                              ; DW_FORM_data1
	.byte	0                               ; EOM(1)
	.byte	0                               ; EOM(2)
	.byte	3                               ; Abbreviation Code
	.byte	46                              ; DW_TAG_subprogram
	.byte	1                               ; DW_CHILDREN_yes
	.byte	17                              ; DW_AT_low_pc
	.byte	1                               ; DW_FORM_addr
	.byte	18                              ; DW_AT_high_pc
	.byte	6                               ; DW_FORM_data4
	.byte	49                              ; DW_AT_abstract_origin
	.byte	19                              ; DW_FORM_ref4
	.byte	0                               ; EOM(1)
	.byte	0                               ; EOM(2)
	.byte	4                               ; Abbreviation Code
	.byte	29                              ; DW_TAG_inlined_subroutine
	.byte	0                               ; DW_CHILDREN_no
	.byte	49                              ; DW_AT_abstract_origin
	.byte	19                              ; DW_FORM_ref4
	.byte	85                              ; DW_AT_ranges
	.byte	23                              ; DW_FORM_sec_offset
	.byte	88                              ; DW_AT_call_file
	.byte	11                              ; DW_FORM_data1
	.byte	89                              ; DW_AT_call_line
	.byte	11                              ; DW_FORM_data1
	.byte	87                              ; DW_AT_call_column
	.byte	11                              ; DW_FORM_data1
	.byte	0                               ; EOM(1)
	.byte	0                               ; EOM(2)
	;; [unrolled: 1-line block ×3, first 2 shown]
	.section	.debug_info,"",@progbits
.Lcu_begin0:
	.long	.Ldebug_info_end0-.Ldebug_info_start0 ; Length of Unit
.Ldebug_info_start0:
	.short	4                               ; DWARF version number
	.long	.debug_abbrev                   ; Offset Into Abbrev. Section
	.byte	8                               ; Address Size (in bytes)
	.byte	1                               ; Abbrev [1] 0xb:0x44 DW_TAG_compile_unit
	.long	.Linfo_string0                  ; DW_AT_producer
	.short	2                               ; DW_AT_language
	.long	.Linfo_string1                  ; DW_AT_name
	.long	.Lline_table_start0             ; DW_AT_stmt_list
	.long	.Linfo_string2                  ; DW_AT_comp_dir
	.quad	.Lfunc_begin0                   ; DW_AT_low_pc
	.long	.Lfunc_end0-.Lfunc_begin0       ; DW_AT_high_pc
	.byte	2                               ; Abbrev [2] 0x2a:0x6 DW_TAG_subprogram
	.long	.Linfo_string3                  ; DW_AT_name
	.byte	1                               ; DW_AT_inline
	.byte	3                               ; Abbrev [3] 0x30:0x1e DW_TAG_subprogram
	.quad	.Lfunc_begin0                   ; DW_AT_low_pc
	.long	.Lfunc_end0-.Lfunc_begin0       ; DW_AT_high_pc
	.long	42                              ; DW_AT_abstract_origin
	.byte	4                               ; Abbrev [4] 0x41:0xc DW_TAG_inlined_subroutine
	.long	42                              ; DW_AT_abstract_origin
	.long	.Ldebug_ranges0                 ; DW_AT_ranges
	.byte	1                               ; DW_AT_call_file
	.byte	51                              ; DW_AT_call_line
	.byte	23                              ; DW_AT_call_column
	.byte	0                               ; End Of Children Mark
	.byte	0                               ; End Of Children Mark
.Ldebug_info_end0:
	.section	.debug_ranges,"",@progbits
.Ldebug_ranges0:
	.quad	.Ltmp2-.Lfunc_begin0
	.quad	.Ltmp3-.Lfunc_begin0
	;; [unrolled: 1-line block ×44, first 2 shown]
	.quad	0
	.quad	0
	.section	.debug_str,"MS",@progbits,1
.Linfo_string0:
	.asciz	"triton"                        ; string offset=0
.Linfo_string1:
	.asciz	"swiglu_aot.py"                 ; string offset=7
.Linfo_string2:
	.asciz	"/root/src/amdgpu-assembly/repos/linkedin__Liger-Kernel/triton_aot_kernels" ; string offset=21
.Linfo_string3:
	.asciz	"_swiglu_backward_kernel"       ; string offset=95
	.section	".note.GNU-stack","",@progbits
	.amdgpu_metadata
---
amdhsa.kernels:
  - .agpr_count:     0
    .args:
      - .address_space:  global
        .offset:         0
        .size:           8
        .value_kind:     global_buffer
      - .address_space:  global
        .offset:         8
        .size:           8
        .value_kind:     global_buffer
      - .address_space:  global
        .offset:         16
        .size:           8
        .value_kind:     global_buffer
      - .offset:         24
        .size:           4
        .value_kind:     by_value
      - .offset:         28
        .size:           4
        .value_kind:     by_value
      - .address_space:  global
        .offset:         32
        .size:           8
        .value_kind:     global_buffer
      - .address_space:  global
        .offset:         40
        .size:           8
        .value_kind:     global_buffer
    .group_segment_fixed_size: 0
    .kernarg_segment_align: 8
    .kernarg_segment_size: 48
    .max_flat_workgroup_size: 256
    .name:           _swiglu_backward_kernel
    .private_segment_fixed_size: 0
    .sgpr_count:     21
    .sgpr_spill_count: 0
    .symbol:         _swiglu_backward_kernel.kd
    .uniform_work_group_size: 1
    .uses_dynamic_stack: false
    .vgpr_count:     60
    .vgpr_spill_count: 0
    .wavefront_size: 64
amdhsa.target:   amdgcn-amd-amdhsa--gfx90a
amdhsa.version:
  - 1
  - 2
...

	.end_amdgpu_metadata
	.section	.debug_line,"",@progbits
.Lline_table_start0:
